;; amdgpu-corpus repo=ROCm/rocFFT kind=compiled arch=gfx906 opt=O3
	.text
	.amdgcn_target "amdgcn-amd-amdhsa--gfx906"
	.amdhsa_code_object_version 6
	.protected	fft_rtc_back_len1875_factors_5_5_5_5_3_wgs_250_tpt_125_halfLds_sp_op_CI_CI_unitstride_sbrr_dirReg ; -- Begin function fft_rtc_back_len1875_factors_5_5_5_5_3_wgs_250_tpt_125_halfLds_sp_op_CI_CI_unitstride_sbrr_dirReg
	.globl	fft_rtc_back_len1875_factors_5_5_5_5_3_wgs_250_tpt_125_halfLds_sp_op_CI_CI_unitstride_sbrr_dirReg
	.p2align	8
	.type	fft_rtc_back_len1875_factors_5_5_5_5_3_wgs_250_tpt_125_halfLds_sp_op_CI_CI_unitstride_sbrr_dirReg,@function
fft_rtc_back_len1875_factors_5_5_5_5_3_wgs_250_tpt_125_halfLds_sp_op_CI_CI_unitstride_sbrr_dirReg: ; @fft_rtc_back_len1875_factors_5_5_5_5_3_wgs_250_tpt_125_halfLds_sp_op_CI_CI_unitstride_sbrr_dirReg
; %bb.0:
	s_load_dwordx4 s[8:11], s[4:5], 0x58
	s_load_dwordx4 s[12:15], s[4:5], 0x0
	;; [unrolled: 1-line block ×3, first 2 shown]
	v_mul_u32_u24_e32 v1, 0x20d, v0
	v_lshrrev_b32_e32 v38, 16, v1
	v_mov_b32_e32 v7, 0
	s_waitcnt lgkmcnt(0)
	v_cmp_lt_u64_e64 s[0:1], s[14:15], 2
	v_mov_b32_e32 v5, 0
	v_lshl_add_u32 v9, s6, 1, v38
	v_mov_b32_e32 v10, v7
	s_and_b64 vcc, exec, s[0:1]
	v_mov_b32_e32 v6, 0
	s_cbranch_vccnz .LBB0_8
; %bb.1:
	s_load_dwordx2 s[0:1], s[4:5], 0x10
	s_add_u32 s2, s18, 8
	s_addc_u32 s3, s19, 0
	s_add_u32 s6, s16, 8
	s_addc_u32 s7, s17, 0
	v_mov_b32_e32 v5, 0
	s_waitcnt lgkmcnt(0)
	s_add_u32 s20, s0, 8
	v_mov_b32_e32 v6, 0
	v_mov_b32_e32 v1, v5
	s_addc_u32 s21, s1, 0
	s_mov_b64 s[22:23], 1
	v_mov_b32_e32 v2, v6
.LBB0_2:                                ; =>This Inner Loop Header: Depth=1
	s_load_dwordx2 s[24:25], s[20:21], 0x0
                                        ; implicit-def: $vgpr3_vgpr4
	s_waitcnt lgkmcnt(0)
	v_or_b32_e32 v8, s25, v10
	v_cmp_ne_u64_e32 vcc, 0, v[7:8]
	s_and_saveexec_b64 s[0:1], vcc
	s_xor_b64 s[26:27], exec, s[0:1]
	s_cbranch_execz .LBB0_4
; %bb.3:                                ;   in Loop: Header=BB0_2 Depth=1
	v_cvt_f32_u32_e32 v3, s24
	v_cvt_f32_u32_e32 v4, s25
	s_sub_u32 s0, 0, s24
	s_subb_u32 s1, 0, s25
	v_mac_f32_e32 v3, 0x4f800000, v4
	v_rcp_f32_e32 v3, v3
	v_mul_f32_e32 v3, 0x5f7ffffc, v3
	v_mul_f32_e32 v4, 0x2f800000, v3
	v_trunc_f32_e32 v4, v4
	v_mac_f32_e32 v3, 0xcf800000, v4
	v_cvt_u32_f32_e32 v4, v4
	v_cvt_u32_f32_e32 v3, v3
	v_mul_lo_u32 v8, s0, v4
	v_mul_hi_u32 v11, s0, v3
	v_mul_lo_u32 v13, s1, v3
	v_mul_lo_u32 v12, s0, v3
	v_add_u32_e32 v8, v11, v8
	v_add_u32_e32 v8, v8, v13
	v_mul_hi_u32 v11, v3, v12
	v_mul_lo_u32 v13, v3, v8
	v_mul_hi_u32 v15, v3, v8
	v_mul_hi_u32 v14, v4, v12
	v_mul_lo_u32 v12, v4, v12
	v_mul_hi_u32 v16, v4, v8
	v_add_co_u32_e32 v11, vcc, v11, v13
	v_addc_co_u32_e32 v13, vcc, 0, v15, vcc
	v_mul_lo_u32 v8, v4, v8
	v_add_co_u32_e32 v11, vcc, v11, v12
	v_addc_co_u32_e32 v11, vcc, v13, v14, vcc
	v_addc_co_u32_e32 v12, vcc, 0, v16, vcc
	v_add_co_u32_e32 v8, vcc, v11, v8
	v_addc_co_u32_e32 v11, vcc, 0, v12, vcc
	v_add_co_u32_e32 v3, vcc, v3, v8
	v_addc_co_u32_e32 v4, vcc, v4, v11, vcc
	v_mul_lo_u32 v8, s0, v4
	v_mul_hi_u32 v11, s0, v3
	v_mul_lo_u32 v12, s1, v3
	v_mul_lo_u32 v13, s0, v3
	v_add_u32_e32 v8, v11, v8
	v_add_u32_e32 v8, v8, v12
	v_mul_lo_u32 v14, v3, v8
	v_mul_hi_u32 v15, v3, v13
	v_mul_hi_u32 v16, v3, v8
	;; [unrolled: 1-line block ×3, first 2 shown]
	v_mul_lo_u32 v13, v4, v13
	v_mul_hi_u32 v11, v4, v8
	v_add_co_u32_e32 v14, vcc, v15, v14
	v_addc_co_u32_e32 v15, vcc, 0, v16, vcc
	v_mul_lo_u32 v8, v4, v8
	v_add_co_u32_e32 v13, vcc, v14, v13
	v_addc_co_u32_e32 v12, vcc, v15, v12, vcc
	v_addc_co_u32_e32 v11, vcc, 0, v11, vcc
	v_add_co_u32_e32 v8, vcc, v12, v8
	v_addc_co_u32_e32 v11, vcc, 0, v11, vcc
	v_add_co_u32_e32 v8, vcc, v3, v8
	v_addc_co_u32_e32 v11, vcc, v4, v11, vcc
	v_mad_u64_u32 v[3:4], s[0:1], v9, v11, 0
	v_mul_hi_u32 v12, v9, v8
	v_add_co_u32_e32 v13, vcc, v12, v3
	v_addc_co_u32_e32 v14, vcc, 0, v4, vcc
	v_mad_u64_u32 v[3:4], s[0:1], v10, v8, 0
	v_mad_u64_u32 v[11:12], s[0:1], v10, v11, 0
	v_add_co_u32_e32 v3, vcc, v13, v3
	v_addc_co_u32_e32 v3, vcc, v14, v4, vcc
	v_addc_co_u32_e32 v4, vcc, 0, v12, vcc
	v_add_co_u32_e32 v8, vcc, v3, v11
	v_addc_co_u32_e32 v11, vcc, 0, v4, vcc
	v_mul_lo_u32 v12, s25, v8
	v_mul_lo_u32 v13, s24, v11
	v_mad_u64_u32 v[3:4], s[0:1], s24, v8, 0
	v_add3_u32 v4, v4, v13, v12
	v_sub_u32_e32 v12, v10, v4
	v_mov_b32_e32 v13, s25
	v_sub_co_u32_e32 v3, vcc, v9, v3
	v_subb_co_u32_e64 v12, s[0:1], v12, v13, vcc
	v_subrev_co_u32_e64 v13, s[0:1], s24, v3
	v_subbrev_co_u32_e64 v12, s[0:1], 0, v12, s[0:1]
	v_cmp_le_u32_e64 s[0:1], s25, v12
	v_cndmask_b32_e64 v14, 0, -1, s[0:1]
	v_cmp_le_u32_e64 s[0:1], s24, v13
	v_cndmask_b32_e64 v13, 0, -1, s[0:1]
	v_cmp_eq_u32_e64 s[0:1], s25, v12
	v_cndmask_b32_e64 v12, v14, v13, s[0:1]
	v_add_co_u32_e64 v13, s[0:1], 2, v8
	v_addc_co_u32_e64 v14, s[0:1], 0, v11, s[0:1]
	v_add_co_u32_e64 v15, s[0:1], 1, v8
	v_addc_co_u32_e64 v16, s[0:1], 0, v11, s[0:1]
	v_subb_co_u32_e32 v4, vcc, v10, v4, vcc
	v_cmp_ne_u32_e64 s[0:1], 0, v12
	v_cmp_le_u32_e32 vcc, s25, v4
	v_cndmask_b32_e64 v12, v16, v14, s[0:1]
	v_cndmask_b32_e64 v14, 0, -1, vcc
	v_cmp_le_u32_e32 vcc, s24, v3
	v_cndmask_b32_e64 v3, 0, -1, vcc
	v_cmp_eq_u32_e32 vcc, s25, v4
	v_cndmask_b32_e32 v3, v14, v3, vcc
	v_cmp_ne_u32_e32 vcc, 0, v3
	v_cndmask_b32_e64 v3, v15, v13, s[0:1]
	v_cndmask_b32_e32 v4, v11, v12, vcc
	v_cndmask_b32_e32 v3, v8, v3, vcc
.LBB0_4:                                ;   in Loop: Header=BB0_2 Depth=1
	s_andn2_saveexec_b64 s[0:1], s[26:27]
	s_cbranch_execz .LBB0_6
; %bb.5:                                ;   in Loop: Header=BB0_2 Depth=1
	v_cvt_f32_u32_e32 v3, s24
	s_sub_i32 s26, 0, s24
	v_rcp_iflag_f32_e32 v3, v3
	v_mul_f32_e32 v3, 0x4f7ffffe, v3
	v_cvt_u32_f32_e32 v3, v3
	v_mul_lo_u32 v4, s26, v3
	v_mul_hi_u32 v4, v3, v4
	v_add_u32_e32 v3, v3, v4
	v_mul_hi_u32 v3, v9, v3
	v_mul_lo_u32 v4, v3, s24
	v_add_u32_e32 v8, 1, v3
	v_sub_u32_e32 v4, v9, v4
	v_subrev_u32_e32 v11, s24, v4
	v_cmp_le_u32_e32 vcc, s24, v4
	v_cndmask_b32_e32 v4, v4, v11, vcc
	v_cndmask_b32_e32 v3, v3, v8, vcc
	v_add_u32_e32 v8, 1, v3
	v_cmp_le_u32_e32 vcc, s24, v4
	v_cndmask_b32_e32 v3, v3, v8, vcc
	v_mov_b32_e32 v4, v7
.LBB0_6:                                ;   in Loop: Header=BB0_2 Depth=1
	s_or_b64 exec, exec, s[0:1]
	v_mul_lo_u32 v8, v4, s24
	v_mul_lo_u32 v13, v3, s25
	v_mad_u64_u32 v[11:12], s[0:1], v3, s24, 0
	s_load_dwordx2 s[0:1], s[6:7], 0x0
	s_load_dwordx2 s[24:25], s[2:3], 0x0
	v_add3_u32 v8, v12, v13, v8
	v_sub_co_u32_e32 v9, vcc, v9, v11
	v_subb_co_u32_e32 v8, vcc, v10, v8, vcc
	s_waitcnt lgkmcnt(0)
	v_mul_lo_u32 v10, s0, v8
	v_mul_lo_u32 v11, s1, v9
	v_mad_u64_u32 v[5:6], s[0:1], s0, v9, v[5:6]
	v_mul_lo_u32 v8, s24, v8
	v_mul_lo_u32 v12, s25, v9
	v_mad_u64_u32 v[1:2], s[0:1], s24, v9, v[1:2]
	s_add_u32 s22, s22, 1
	s_addc_u32 s23, s23, 0
	s_add_u32 s2, s2, 8
	v_add3_u32 v2, v12, v2, v8
	s_addc_u32 s3, s3, 0
	v_mov_b32_e32 v8, s14
	s_add_u32 s6, s6, 8
	v_mov_b32_e32 v9, s15
	s_addc_u32 s7, s7, 0
	v_cmp_ge_u64_e32 vcc, s[22:23], v[8:9]
	s_add_u32 s20, s20, 8
	v_add3_u32 v6, v11, v6, v10
	s_addc_u32 s21, s21, 0
	s_cbranch_vccnz .LBB0_9
; %bb.7:                                ;   in Loop: Header=BB0_2 Depth=1
	v_mov_b32_e32 v10, v4
	v_mov_b32_e32 v9, v3
	s_branch .LBB0_2
.LBB0_8:
	v_mov_b32_e32 v1, v5
	v_mov_b32_e32 v3, v9
	;; [unrolled: 1-line block ×4, first 2 shown]
.LBB0_9:
	s_load_dwordx2 s[0:1], s[4:5], 0x28
	s_lshl_b64 s[6:7], s[14:15], 3
	s_add_u32 s2, s18, s6
	s_addc_u32 s3, s19, s7
                                        ; implicit-def: $vgpr37
	s_waitcnt lgkmcnt(0)
	v_cmp_gt_u64_e32 vcc, s[0:1], v[3:4]
	v_cmp_le_u64_e64 s[0:1], s[0:1], v[3:4]
	s_and_saveexec_b64 s[4:5], s[0:1]
	s_xor_b64 s[0:1], exec, s[4:5]
; %bb.10:
	s_mov_b32 s4, 0x20c49bb
	v_mul_hi_u32 v5, v0, s4
	v_mul_u32_u24_e32 v5, 0x7d, v5
	v_sub_u32_e32 v37, v0, v5
                                        ; implicit-def: $vgpr0
                                        ; implicit-def: $vgpr5_vgpr6
; %bb.11:
	s_or_saveexec_b64 s[4:5], s[0:1]
                                        ; implicit-def: $vgpr26
                                        ; implicit-def: $vgpr24
                                        ; implicit-def: $vgpr28
                                        ; implicit-def: $vgpr18
                                        ; implicit-def: $vgpr8
                                        ; implicit-def: $vgpr36
                                        ; implicit-def: $vgpr34
                                        ; implicit-def: $vgpr32
                                        ; implicit-def: $vgpr16
                                        ; implicit-def: $vgpr30
                                        ; implicit-def: $vgpr20
                                        ; implicit-def: $vgpr22
                                        ; implicit-def: $vgpr12
                                        ; implicit-def: $vgpr10
                                        ; implicit-def: $vgpr14
	s_xor_b64 exec, exec, s[4:5]
	s_cbranch_execz .LBB0_13
; %bb.12:
	s_add_u32 s0, s16, s6
	s_addc_u32 s1, s17, s7
	s_load_dwordx2 s[0:1], s[0:1], 0x0
	s_mov_b32 s6, 0x20c49bb
	v_mul_hi_u32 v9, v0, s6
	v_lshlrev_b64 v[5:6], 3, v[5:6]
	s_waitcnt lgkmcnt(0)
	v_mul_lo_u32 v10, s1, v3
	v_mul_lo_u32 v11, s0, v4
	v_mad_u64_u32 v[7:8], s[0:1], s0, v3, 0
	v_mul_u32_u24_e32 v9, 0x7d, v9
	v_sub_u32_e32 v37, v0, v9
	v_add3_u32 v8, v8, v11, v10
	v_lshlrev_b64 v[7:8], 3, v[7:8]
	v_mov_b32_e32 v0, s9
	v_add_co_u32_e64 v7, s[0:1], s8, v7
	v_addc_co_u32_e64 v0, s[0:1], v0, v8, s[0:1]
	v_add_co_u32_e64 v5, s[0:1], v7, v5
	v_addc_co_u32_e64 v0, s[0:1], v0, v6, s[0:1]
	v_lshlrev_b32_e32 v6, 3, v37
	v_add_co_u32_e64 v5, s[0:1], v5, v6
	v_addc_co_u32_e64 v6, s[0:1], 0, v0, s[0:1]
	s_movk_i32 s0, 0x1000
	v_add_co_u32_e64 v39, s[0:1], s0, v5
	v_addc_co_u32_e64 v40, s[0:1], 0, v6, s[0:1]
	s_movk_i32 s0, 0x2000
	;; [unrolled: 3-line block ×3, first 2 shown]
	v_add_co_u32_e64 v43, s[0:1], s0, v5
	global_load_dwordx2 v[13:14], v[5:6], off
	global_load_dwordx2 v[29:30], v[5:6], off offset:1000
	global_load_dwordx2 v[15:16], v[5:6], off offset:4000
	v_addc_co_u32_e64 v44, s[0:1], 0, v6, s[0:1]
	global_load_dwordx2 v[9:10], v[5:6], off offset:3000
	global_load_dwordx2 v[7:8], v[5:6], off offset:2000
	;; [unrolled: 1-line block ×12, first 2 shown]
.LBB0_13:
	s_or_b64 exec, exec, s[4:5]
	v_and_b32_e32 v0, 1, v38
	v_mov_b32_e32 v5, 0x1d4c
	v_cmp_eq_u32_e64 s[0:1], 1, v0
	v_cndmask_b32_e64 v42, 0, v5, s[0:1]
	s_waitcnt vmcnt(3)
	v_add_f32_e32 v5, v21, v11
	v_fma_f32 v5, -0.5, v5, v13
	v_sub_f32_e32 v6, v9, v11
	s_waitcnt vmcnt(2)
	v_sub_f32_e32 v38, v19, v21
	v_add_f32_e32 v0, v9, v13
	v_add_f32_e32 v6, v38, v6
	v_sub_f32_e32 v38, v10, v20
	v_mov_b32_e32 v39, v5
	v_add_f32_e32 v0, v11, v0
	v_fmac_f32_e32 v39, 0xbf737871, v38
	v_sub_f32_e32 v40, v12, v22
	v_add_f32_e32 v0, v21, v0
	v_fmac_f32_e32 v39, 0xbf167918, v40
	v_add_u32_e32 v41, 0, v42
	v_add_f32_e32 v0, v19, v0
	v_fmac_f32_e32 v39, 0x3e9e377a, v6
	v_mad_u32_u24 v43, v37, 20, v41
	v_add_f32_e32 v44, v33, v31
	ds_write2_b32 v43, v0, v39 offset1:1
	v_sub_f32_e32 v0, v15, v31
	s_waitcnt vmcnt(1)
	v_sub_f32_e32 v39, v35, v33
	v_fma_f32 v44, -0.5, v44, v29
	v_add_f32_e32 v0, v39, v0
	v_add_f32_e32 v39, v15, v29
	v_sub_f32_e32 v45, v16, v36
	v_mov_b32_e32 v46, v44
	v_add_f32_e32 v39, v31, v39
	v_fmac_f32_e32 v46, 0xbf737871, v45
	v_sub_f32_e32 v47, v32, v34
	v_add_f32_e32 v39, v33, v39
	v_fmac_f32_e32 v46, 0xbf167918, v47
	v_add_f32_e32 v39, v35, v39
	v_fmac_f32_e32 v46, 0x3e9e377a, v0
	v_add_u32_e32 v48, 0x9c4, v43
	v_add_f32_e32 v49, v23, v27
	ds_write2_b32 v48, v39, v46 offset1:1
	v_sub_f32_e32 v39, v17, v27
	s_waitcnt vmcnt(0)
	v_sub_f32_e32 v46, v25, v23
	v_fma_f32 v49, -0.5, v49, v7
	v_add_f32_e32 v39, v46, v39
	v_add_f32_e32 v46, v17, v7
	v_sub_f32_e32 v50, v18, v26
	v_mov_b32_e32 v51, v49
	v_add_f32_e32 v46, v27, v46
	v_fmac_f32_e32 v51, 0xbf737871, v50
	v_sub_f32_e32 v52, v28, v24
	v_fmac_f32_e32 v5, 0x3f737871, v38
	v_add_f32_e32 v46, v23, v46
	v_fmac_f32_e32 v51, 0xbf167918, v52
	v_fmac_f32_e32 v5, 0x3f167918, v40
	v_add_f32_e32 v46, v25, v46
	v_fmac_f32_e32 v51, 0x3e9e377a, v39
	v_add_u32_e32 v53, 0x1388, v43
	v_fmac_f32_e32 v5, 0x3e9e377a, v6
	v_add_f32_e32 v6, v19, v9
	ds_write2_b32 v53, v46, v51 offset1:1
	v_fmac_f32_e32 v13, -0.5, v6
	v_sub_f32_e32 v6, v11, v9
	v_sub_f32_e32 v46, v21, v19
	v_add_f32_e32 v6, v46, v6
	v_mov_b32_e32 v46, v13
	v_fmac_f32_e32 v44, 0x3f737871, v45
	v_fmac_f32_e32 v46, 0x3f737871, v40
	;; [unrolled: 1-line block ×7, first 2 shown]
	v_add_f32_e32 v0, v35, v15
	v_fmac_f32_e32 v46, 0x3e9e377a, v6
	v_fmac_f32_e32 v13, 0x3e9e377a, v6
	v_fmac_f32_e32 v29, -0.5, v0
	v_sub_f32_e32 v0, v31, v15
	v_sub_f32_e32 v6, v33, v35
	v_add_f32_e32 v0, v6, v0
	v_mov_b32_e32 v6, v29
	v_fmac_f32_e32 v6, 0x3f737871, v47
	v_fmac_f32_e32 v29, 0xbf737871, v47
	;; [unrolled: 1-line block ×6, first 2 shown]
	v_add_f32_e32 v0, v34, v32
	v_fma_f32 v45, -0.5, v0, v30
	v_add_f32_e32 v0, v36, v16
	v_add_f32_e32 v47, v16, v30
	v_fmac_f32_e32 v30, -0.5, v0
	v_sub_f32_e32 v51, v31, v33
	v_mov_b32_e32 v54, v30
	v_sub_f32_e32 v0, v32, v16
	v_sub_f32_e32 v38, v34, v36
	v_fmac_f32_e32 v54, 0xbf737871, v51
	v_sub_f32_e32 v15, v15, v35
	v_fmac_f32_e32 v30, 0x3f737871, v51
	v_add_f32_e32 v0, v38, v0
	v_fmac_f32_e32 v54, 0x3f167918, v15
	v_fmac_f32_e32 v30, 0xbf167918, v15
	;; [unrolled: 1-line block ×4, first 2 shown]
	v_add_f32_e32 v0, v25, v17
	v_fmac_f32_e32 v7, -0.5, v0
	v_sub_f32_e32 v0, v27, v17
	v_sub_f32_e32 v31, v23, v25
	v_add_f32_e32 v0, v31, v0
	v_mov_b32_e32 v31, v7
	v_fmac_f32_e32 v31, 0x3f737871, v52
	v_fmac_f32_e32 v7, 0xbf737871, v52
	;; [unrolled: 1-line block ×5, first 2 shown]
	ds_write2_b32 v43, v46, v13 offset0:2 offset1:3
	ds_write_b32 v43, v5 offset:16
	v_add_u32_e32 v46, 0x9cc, v43
	v_fmac_f32_e32 v49, 0x3f167918, v52
	v_fmac_f32_e32 v31, 0x3e9e377a, v0
	;; [unrolled: 1-line block ×3, first 2 shown]
	ds_write2_b32 v46, v6, v29 offset1:1
	ds_write_b32 v43, v44 offset:2516
	v_add_u32_e32 v44, 0x1390, v43
	v_lshlrev_b32_e32 v0, 4, v37
	v_fmac_f32_e32 v49, 0x3e9e377a, v39
	ds_write2_b32 v44, v31, v7 offset1:1
	ds_write_b32 v43, v49 offset:5016
	v_sub_u32_e32 v31, v43, v0
	v_lshlrev_b32_e32 v5, 2, v37
	v_add_u32_e32 v0, v41, v5
	v_add_u32_e32 v35, 0x400, v31
	s_load_dwordx2 s[2:3], s[2:3], 0x0
	s_waitcnt lgkmcnt(0)
	s_barrier
	ds_read_b32 v13, v0
	v_add_u32_e32 v29, 0x800, v31
	v_add_u32_e32 v38, 0x1000, v31
	v_add_u32_e32 v33, 0x1400, v31
	v_add_u32_e32 v39, 0xc00, v31
	v_add_u32_e32 v40, 0x1800, v31
	ds_read2_b32 v[59:60], v35 offset0:119 offset1:244
	ds_read2_b32 v[61:62], v29 offset0:113 offset1:238
	;; [unrolled: 1-line block ×7, first 2 shown]
	s_waitcnt lgkmcnt(0)
	s_barrier
	ds_write2_b32 v46, v54, v30 offset1:1
	v_add_f32_e32 v30, v22, v12
	v_add_f32_e32 v49, v20, v10
	v_fma_f32 v30, -0.5, v30, v14
	v_add_f32_e32 v46, v10, v14
	v_fmac_f32_e32 v14, -0.5, v49
	v_sub_f32_e32 v11, v11, v21
	v_mov_b32_e32 v21, v14
	v_sub_f32_e32 v49, v12, v10
	v_sub_f32_e32 v50, v22, v20
	v_fmac_f32_e32 v21, 0xbf737871, v11
	v_sub_f32_e32 v9, v9, v19
	v_fmac_f32_e32 v14, 0x3f737871, v11
	v_add_f32_e32 v49, v50, v49
	v_fmac_f32_e32 v21, 0x3f167918, v9
	v_fmac_f32_e32 v14, 0xbf167918, v9
	;; [unrolled: 1-line block ×4, first 2 shown]
	ds_write2_b32 v43, v21, v14 offset0:2 offset1:3
	v_sub_f32_e32 v14, v16, v32
	v_sub_f32_e32 v19, v36, v34
	v_add_f32_e32 v14, v19, v14
	v_mov_b32_e32 v19, v45
	v_add_f32_e32 v16, v32, v47
	v_fmac_f32_e32 v19, 0x3f737871, v15
	v_add_f32_e32 v16, v34, v16
	v_fmac_f32_e32 v19, 0x3f167918, v51
	;; [unrolled: 2-line block ×3, first 2 shown]
	ds_write2_b32 v48, v16, v19 offset1:1
	v_add_f32_e32 v19, v24, v28
	v_sub_f32_e32 v21, v27, v23
	v_sub_f32_e32 v23, v18, v28
	;; [unrolled: 1-line block ×4, first 2 shown]
	v_fma_f32 v19, -0.5, v19, v8
	v_add_f32_e32 v16, v18, v8
	v_add_f32_e32 v23, v25, v23
	v_mov_b32_e32 v25, v19
	v_add_f32_e32 v16, v28, v16
	v_fmac_f32_e32 v25, 0x3f737871, v17
	v_add_f32_e32 v16, v24, v16
	v_fmac_f32_e32 v25, 0x3f167918, v21
	;; [unrolled: 2-line block ×3, first 2 shown]
	ds_write2_b32 v53, v16, v25 offset1:1
	v_sub_f32_e32 v10, v10, v12
	v_sub_f32_e32 v16, v20, v22
	v_add_f32_e32 v10, v16, v10
	v_mov_b32_e32 v16, v30
	v_sub_f32_e32 v27, v28, v18
	v_add_f32_e32 v18, v26, v18
	v_fmac_f32_e32 v16, 0x3f737871, v9
	v_fmac_f32_e32 v30, 0xbf737871, v9
	;; [unrolled: 1-line block ×4, first 2 shown]
	v_fmac_f32_e32 v8, -0.5, v18
	v_sub_f32_e32 v24, v24, v26
	v_add_f32_e32 v12, v12, v46
	v_fmac_f32_e32 v16, 0x3e9e377a, v10
	v_fmac_f32_e32 v30, 0x3e9e377a, v10
	v_mov_b32_e32 v10, v8
	v_fmac_f32_e32 v8, 0x3f737871, v21
	v_add_f32_e32 v12, v22, v12
	v_fmac_f32_e32 v45, 0xbf737871, v15
	v_fmac_f32_e32 v19, 0xbf737871, v17
	v_add_f32_e32 v9, v24, v27
	v_fmac_f32_e32 v10, 0xbf737871, v21
	;; [unrolled: 3-line block ×3, first 2 shown]
	v_fmac_f32_e32 v19, 0xbf167918, v21
	v_fmac_f32_e32 v10, 0x3f167918, v17
	;; [unrolled: 1-line block ×3, first 2 shown]
	s_movk_i32 s0, 0xcd
	ds_write2_b32 v43, v12, v16 offset1:1
	v_fmac_f32_e32 v45, 0x3e9e377a, v14
	v_fmac_f32_e32 v19, 0x3e9e377a, v23
	;; [unrolled: 1-line block ×3, first 2 shown]
	ds_write_b32 v43, v30 offset:16
	ds_write_b32 v43, v45 offset:2516
	ds_write2_b32 v44, v10, v8 offset1:1
	ds_write_b32 v43, v19 offset:5016
	v_mul_lo_u16_sdwa v8, v37, s0 dst_sel:DWORD dst_unused:UNUSED_PAD src0_sel:BYTE_0 src1_sel:DWORD
	v_lshrrev_b16_e32 v12, 10, v8
	v_mul_lo_u16_e32 v8, 5, v12
	v_sub_u16_e32 v20, v37, v8
	v_mov_b32_e32 v9, 5
	v_lshlrev_b32_sdwa v8, v9, v20 dst_sel:DWORD dst_unused:UNUSED_PAD src0_sel:DWORD src1_sel:BYTE_0
	v_add_u32_e32 v21, 0x7d, v37
	s_waitcnt lgkmcnt(0)
	s_barrier
	global_load_dwordx4 v[14:17], v8, s[12:13]
	v_mul_lo_u16_sdwa v10, v21, s0 dst_sel:DWORD dst_unused:UNUSED_PAD src0_sel:BYTE_0 src1_sel:DWORD
	v_lshrrev_b16_e32 v27, 10, v10
	v_mul_lo_u16_e32 v10, 5, v27
	v_sub_u16_e32 v28, v21, v10
	v_lshlrev_b32_sdwa v10, v9, v28 dst_sel:DWORD dst_unused:UNUSED_PAD src0_sel:DWORD src1_sel:BYTE_0
	global_load_dwordx4 v[23:26], v10, s[12:13]
	s_mov_b32 s0, 0xcccd
	v_add_u32_e32 v22, 0xfa, v37
	v_mul_u32_u24_sdwa v11, v22, s0 dst_sel:DWORD dst_unused:UNUSED_PAD src0_sel:WORD_0 src1_sel:DWORD
	v_lshrrev_b32_e32 v30, 18, v11
	v_mul_lo_u16_e32 v11, 5, v30
	v_sub_u16_e32 v32, v22, v11
	v_lshlrev_b32_e32 v11, 5, v32
	global_load_dwordx4 v[43:46], v11, s[12:13]
	global_load_dwordx4 v[47:50], v8, s[12:13] offset:16
	global_load_dwordx4 v[51:54], v10, s[12:13] offset:16
	;; [unrolled: 1-line block ×3, first 2 shown]
	ds_read2_b32 v[10:11], v35 offset0:119 offset1:244
	ds_read2_b32 v[18:19], v29 offset0:113 offset1:238
	s_movk_i32 s0, 0x64
	v_mad_u32_u24 v12, v12, s0, 0
	v_mad_u32_u24 v27, v27, s0, 0
	s_waitcnt vmcnt(5) lgkmcnt(1)
	v_mul_f32_e32 v34, v10, v15
	v_mul_f32_e32 v8, v59, v15
	v_fmac_f32_e32 v34, v59, v14
	v_fma_f32 v36, v10, v14, -v8
	ds_read2_b32 v[14:15], v39 offset0:107 offset1:232
	v_mul_f32_e32 v8, v62, v17
	s_waitcnt lgkmcnt(1)
	v_mul_f32_e32 v59, v19, v17
	v_fma_f32 v17, v19, v16, -v8
	s_waitcnt vmcnt(4)
	v_mul_f32_e32 v71, v11, v24
	v_mul_f32_e32 v8, v60, v24
	v_fmac_f32_e32 v71, v60, v23
	v_fma_f32 v23, v11, v23, -v8
	s_waitcnt lgkmcnt(0)
	v_mul_f32_e32 v24, v14, v26
	v_mul_f32_e32 v8, v67, v26
	v_fmac_f32_e32 v24, v67, v25
	v_fma_f32 v25, v14, v25, -v8
	s_waitcnt vmcnt(3)
	v_mul_f32_e32 v8, v61, v44
	v_mul_f32_e32 v26, v18, v44
	v_fma_f32 v18, v18, v43, -v8
	ds_read2_b32 v[10:11], v38 offset0:101 offset1:226
	v_mul_f32_e32 v8, v68, v46
	v_fmac_f32_e32 v26, v61, v43
	v_mul_f32_e32 v43, v15, v46
	v_fma_f32 v44, v15, v45, -v8
	ds_read2_b32 v[14:15], v33 offset0:95 offset1:220
	s_waitcnt vmcnt(2)
	v_mul_f32_e32 v8, v63, v48
	v_fmac_f32_e32 v43, v68, v45
	s_waitcnt lgkmcnt(1)
	v_fma_f32 v45, v10, v47, -v8
	v_mul_f32_e32 v8, v66, v50
	v_fmac_f32_e32 v59, v62, v16
	v_mul_f32_e32 v19, v10, v48
	s_waitcnt lgkmcnt(0)
	v_mul_f32_e32 v10, v15, v50
	v_fma_f32 v46, v15, v49, -v8
	ds_read2_b32 v[15:16], v40 offset0:89 offset1:214
	s_waitcnt vmcnt(1)
	v_mul_f32_e32 v8, v64, v52
	v_fma_f32 v48, v11, v51, -v8
	v_mul_f32_e32 v8, v69, v54
	v_fmac_f32_e32 v10, v66, v49
	s_waitcnt lgkmcnt(0)
	v_mul_f32_e32 v49, v15, v54
	v_fma_f32 v15, v15, v53, -v8
	s_waitcnt vmcnt(0)
	v_mul_f32_e32 v8, v65, v56
	v_fmac_f32_e32 v19, v63, v47
	v_mul_f32_e32 v47, v11, v52
	v_mul_f32_e32 v50, v14, v56
	v_fma_f32 v14, v14, v55, -v8
	v_mul_f32_e32 v8, v70, v58
	v_fmac_f32_e32 v47, v64, v51
	v_mul_f32_e32 v51, v16, v58
	v_fma_f32 v16, v16, v57, -v8
	v_sub_f32_e32 v8, v34, v59
	v_sub_f32_e32 v11, v10, v19
	v_add_f32_e32 v52, v8, v11
	v_mov_b32_e32 v8, 2
	v_lshlrev_b32_sdwa v11, v8, v20 dst_sel:DWORD dst_unused:UNUSED_PAD src0_sel:DWORD src1_sel:BYTE_0
	v_fmac_f32_e32 v49, v69, v53
	v_add3_u32 v53, v12, v11, v42
	v_add_f32_e32 v11, v13, v34
	v_add_f32_e32 v11, v11, v59
	;; [unrolled: 1-line block ×5, first 2 shown]
	v_fma_f32 v54, -0.5, v11, v13
	v_fmac_f32_e32 v50, v65, v55
	v_sub_f32_e32 v55, v36, v46
	v_mov_b32_e32 v56, v54
	v_fmac_f32_e32 v51, v70, v57
	v_fmac_f32_e32 v56, 0xbf737871, v55
	v_sub_f32_e32 v57, v17, v45
	v_fmac_f32_e32 v56, 0xbf167918, v57
	v_fmac_f32_e32 v56, 0x3e9e377a, v52
	ds_read_b32 v63, v0
	ds_read2_b32 v[11:12], v31 offset0:125 offset1:250
	s_waitcnt lgkmcnt(0)
	s_barrier
	ds_write2_b32 v53, v20, v56 offset1:5
	v_add_f32_e32 v20, v34, v10
	v_fmac_f32_e32 v13, -0.5, v20
	v_sub_f32_e32 v20, v59, v34
	v_sub_f32_e32 v56, v19, v10
	v_add_f32_e32 v20, v20, v56
	v_mov_b32_e32 v56, v13
	v_fmac_f32_e32 v56, 0x3f737871, v57
	v_fmac_f32_e32 v13, 0xbf737871, v57
	;; [unrolled: 1-line block ×6, first 2 shown]
	ds_write2_b32 v53, v56, v13 offset0:10 offset1:15
	v_fmac_f32_e32 v54, 0x3f737871, v55
	v_sub_f32_e32 v13, v71, v24
	v_sub_f32_e32 v20, v49, v47
	v_fmac_f32_e32 v54, 0x3f167918, v57
	v_add_f32_e32 v13, v13, v20
	v_lshlrev_b32_sdwa v20, v8, v28 dst_sel:DWORD dst_unused:UNUSED_PAD src0_sel:DWORD src1_sel:BYTE_0
	v_fmac_f32_e32 v54, 0x3e9e377a, v52
	v_add3_u32 v52, v27, v20, v42
	v_add_f32_e32 v27, v24, v47
	v_fma_f32 v27, -0.5, v27, v6
	ds_write_b32 v53, v54 offset:80
	v_add_f32_e32 v20, v6, v71
	v_sub_f32_e32 v28, v23, v15
	v_mov_b32_e32 v54, v27
	v_add_f32_e32 v20, v20, v24
	v_fmac_f32_e32 v54, 0xbf737871, v28
	v_sub_f32_e32 v55, v25, v48
	v_add_f32_e32 v20, v20, v47
	v_fmac_f32_e32 v54, 0xbf167918, v55
	v_add_f32_e32 v20, v20, v49
	v_fmac_f32_e32 v54, 0x3e9e377a, v13
	ds_write2_b32 v52, v20, v54 offset1:5
	v_sub_f32_e32 v20, v24, v71
	v_sub_f32_e32 v54, v47, v49
	v_add_f32_e32 v20, v20, v54
	v_add_f32_e32 v54, v71, v49
	v_fma_f32 v6, -0.5, v54, v6
	v_mov_b32_e32 v54, v6
	v_fmac_f32_e32 v54, 0x3f737871, v55
	v_fmac_f32_e32 v6, 0xbf737871, v55
	;; [unrolled: 1-line block ×7, first 2 shown]
	ds_write2_b32 v52, v54, v6 offset0:10 offset1:15
	v_fmac_f32_e32 v27, 0x3f167918, v55
	v_add_f32_e32 v6, v43, v50
	v_add_f32_e32 v20, v26, v51
	v_fmac_f32_e32 v27, 0x3e9e377a, v13
	v_fma_f32 v6, -0.5, v6, v7
	v_add_f32_e32 v13, v7, v26
	v_fmac_f32_e32 v7, -0.5, v20
	v_sub_f32_e32 v20, v43, v26
	v_sub_f32_e32 v28, v50, v51
	v_add_f32_e32 v20, v20, v28
	v_sub_f32_e32 v28, v44, v14
	v_mov_b32_e32 v54, v7
	v_fmac_f32_e32 v54, 0x3f737871, v28
	v_sub_f32_e32 v55, v18, v16
	v_fmac_f32_e32 v7, 0xbf737871, v28
	v_fmac_f32_e32 v54, 0xbf167918, v55
	;; [unrolled: 1-line block ×5, first 2 shown]
	ds_write_b32 v52, v27 offset:80
	v_lshlrev_b32_e32 v20, 2, v32
	v_mad_u32_u24 v27, v30, s0, 0
	v_add3_u32 v30, v27, v20, v42
	ds_write2_b32 v30, v54, v7 offset0:10 offset1:15
	v_sub_f32_e32 v7, v26, v43
	v_sub_f32_e32 v20, v51, v50
	v_add_f32_e32 v7, v7, v20
	v_mov_b32_e32 v20, v6
	v_fmac_f32_e32 v6, 0x3f737871, v55
	v_fmac_f32_e32 v6, 0x3f167918, v28
	;; [unrolled: 1-line block ×3, first 2 shown]
	ds_write_b32 v30, v6 offset:80
	v_add_f32_e32 v6, v63, v36
	v_add_f32_e32 v6, v6, v17
	;; [unrolled: 1-line block ×3, first 2 shown]
	v_fmac_f32_e32 v20, 0xbf737871, v55
	v_add_f32_e32 v6, v6, v45
	v_add_f32_e32 v13, v13, v50
	v_fmac_f32_e32 v20, 0xbf167918, v28
	v_add_f32_e32 v54, v6, v46
	v_add_f32_e32 v6, v17, v45
	;; [unrolled: 1-line block ×3, first 2 shown]
	v_fmac_f32_e32 v20, 0x3e9e377a, v7
	v_fma_f32 v64, -0.5, v6, v63
	ds_write2_b32 v30, v13, v20 offset1:5
	v_sub_f32_e32 v13, v34, v10
	v_mov_b32_e32 v65, v64
	v_sub_f32_e32 v32, v59, v19
	v_sub_f32_e32 v10, v36, v17
	;; [unrolled: 1-line block ×3, first 2 shown]
	v_fmac_f32_e32 v65, 0x3f737871, v13
	v_add_f32_e32 v34, v10, v19
	v_fmac_f32_e32 v65, 0x3f167918, v32
	v_fmac_f32_e32 v65, 0x3e9e377a, v34
	s_waitcnt lgkmcnt(0)
	s_barrier
	ds_read_b32 v10, v0
	ds_read2_b32 v[19:20], v35 offset0:119 offset1:244
	ds_read2_b32 v[27:28], v29 offset0:113 offset1:238
	;; [unrolled: 1-line block ×7, first 2 shown]
	s_waitcnt lgkmcnt(0)
	s_barrier
	ds_write2_b32 v53, v54, v65 offset1:5
	v_add_f32_e32 v54, v36, v46
	v_fmac_f32_e32 v63, -0.5, v54
	v_sub_f32_e32 v17, v17, v36
	v_sub_f32_e32 v36, v45, v46
	v_add_f32_e32 v17, v17, v36
	v_mov_b32_e32 v36, v63
	v_fmac_f32_e32 v36, 0xbf737871, v32
	v_fmac_f32_e32 v63, 0x3f737871, v32
	;; [unrolled: 1-line block ×8, first 2 shown]
	v_sub_f32_e32 v17, v24, v47
	v_sub_f32_e32 v24, v23, v25
	;; [unrolled: 1-line block ×3, first 2 shown]
	v_add_f32_e32 v24, v24, v32
	v_add_f32_e32 v32, v11, v23
	v_fmac_f32_e32 v64, 0x3e9e377a, v34
	v_add_f32_e32 v32, v32, v25
	v_add_f32_e32 v34, v25, v48
	v_sub_f32_e32 v25, v25, v23
	v_add_f32_e32 v23, v23, v15
	v_fma_f32 v34, -0.5, v34, v11
	v_fma_f32 v11, -0.5, v23, v11
	v_add_f32_e32 v32, v32, v48
	v_mov_b32_e32 v23, v11
	v_sub_f32_e32 v13, v71, v49
	v_add_f32_e32 v32, v32, v15
	v_sub_f32_e32 v15, v48, v15
	v_fmac_f32_e32 v23, 0xbf737871, v17
	v_fmac_f32_e32 v11, 0x3f737871, v17
	ds_write2_b32 v53, v36, v63 offset0:10 offset1:15
	v_mov_b32_e32 v36, v34
	v_add_f32_e32 v15, v25, v15
	v_fmac_f32_e32 v23, 0x3f167918, v13
	v_fmac_f32_e32 v11, 0xbf167918, v13
	;; [unrolled: 1-line block ×6, first 2 shown]
	ds_write_b32 v53, v64 offset:80
	v_fmac_f32_e32 v36, 0x3f167918, v17
	ds_write2_b32 v52, v23, v11 offset0:10 offset1:15
	v_fmac_f32_e32 v34, 0xbf167918, v17
	v_add_f32_e32 v15, v44, v14
	v_add_f32_e32 v23, v18, v16
	v_fmac_f32_e32 v36, 0x3e9e377a, v24
	v_fmac_f32_e32 v34, 0x3e9e377a, v24
	v_fma_f32 v15, -0.5, v15, v12
	v_add_f32_e32 v17, v12, v18
	v_fmac_f32_e32 v12, -0.5, v23
	v_sub_f32_e32 v23, v44, v18
	v_sub_f32_e32 v24, v14, v16
	;; [unrolled: 1-line block ×3, first 2 shown]
	v_add_f32_e32 v23, v23, v24
	v_mov_b32_e32 v24, v12
	v_sub_f32_e32 v11, v26, v51
	v_fmac_f32_e32 v24, 0xbf737871, v13
	v_fmac_f32_e32 v12, 0x3f737871, v13
	;; [unrolled: 1-line block ×6, first 2 shown]
	ds_write2_b32 v52, v32, v36 offset1:5
	ds_write_b32 v52, v34 offset:80
	ds_write2_b32 v30, v24, v12 offset0:10 offset1:15
	v_add_f32_e32 v12, v17, v44
	v_add_f32_e32 v12, v12, v14
	;; [unrolled: 1-line block ×3, first 2 shown]
	v_sub_f32_e32 v14, v16, v14
	v_mov_b32_e32 v16, v15
	v_sub_f32_e32 v17, v18, v44
	v_fmac_f32_e32 v16, 0x3f737871, v11
	v_fmac_f32_e32 v15, 0xbf737871, v11
	v_add_f32_e32 v14, v17, v14
	v_fmac_f32_e32 v16, 0x3f167918, v13
	v_fmac_f32_e32 v15, 0xbf167918, v13
	;; [unrolled: 1-line block ×4, first 2 shown]
	ds_write2_b32 v30, v12, v16 offset1:5
	ds_write_b32 v30, v15 offset:80
	v_mov_b32_e32 v15, 41
	v_mul_lo_u16_sdwa v11, v37, v15 dst_sel:DWORD dst_unused:UNUSED_PAD src0_sel:BYTE_0 src1_sel:DWORD
	v_lshrrev_b16_e32 v30, 10, v11
	v_mul_lo_u16_e32 v11, 25, v30
	v_sub_u16_e32 v32, v37, v11
	v_lshlrev_b32_sdwa v34, v9, v32 dst_sel:DWORD dst_unused:UNUSED_PAD src0_sel:DWORD src1_sel:BYTE_0
	s_waitcnt lgkmcnt(0)
	s_barrier
	global_load_dwordx4 v[11:14], v34, s[12:13] offset:160
	v_mul_lo_u16_sdwa v15, v21, v15 dst_sel:DWORD dst_unused:UNUSED_PAD src0_sel:BYTE_0 src1_sel:DWORD
	v_lshrrev_b16_e32 v36, 10, v15
	s_movk_i32 s0, 0x47af
	v_mul_lo_u16_e32 v15, 25, v36
	v_mul_u32_u24_sdwa v23, v22, s0 dst_sel:DWORD dst_unused:UNUSED_PAD src0_sel:WORD_0 src1_sel:DWORD
	v_sub_u16_e32 v67, v21, v15
	v_sub_u16_sdwa v24, v22, v23 dst_sel:DWORD dst_unused:UNUSED_PAD src0_sel:DWORD src1_sel:WORD_1
	v_lshlrev_b32_sdwa v9, v9, v67 dst_sel:DWORD dst_unused:UNUSED_PAD src0_sel:DWORD src1_sel:BYTE_0
	global_load_dwordx4 v[15:18], v9, s[12:13] offset:160
	v_lshrrev_b16_e32 v24, 1, v24
	v_add_u16_sdwa v23, v24, v23 dst_sel:DWORD dst_unused:UNUSED_PAD src0_sel:DWORD src1_sel:WORD_1
	v_lshrrev_b16_e32 v68, 4, v23
	v_mul_lo_u16_e32 v23, 25, v68
	v_sub_u16_e32 v69, v22, v23
	v_lshlrev_b32_e32 v63, 5, v69
	global_load_dwordx4 v[23:26], v63, s[12:13] offset:160
	global_load_dwordx4 v[43:46], v34, s[12:13] offset:176
	;; [unrolled: 1-line block ×4, first 2 shown]
	ds_read2_b32 v[63:64], v35 offset0:119 offset1:244
	ds_read2_b32 v[65:66], v29 offset0:113 offset1:238
	s_movk_i32 s0, 0x1f4
	s_waitcnt vmcnt(5) lgkmcnt(1)
	v_mul_f32_e32 v9, v63, v12
	v_mul_f32_e32 v12, v19, v12
	v_fmac_f32_e32 v9, v19, v11
	v_fma_f32 v34, v63, v11, -v12
	v_mul_f32_e32 v11, v28, v14
	s_waitcnt lgkmcnt(0)
	v_fma_f32 v63, v66, v13, -v11
	ds_read2_b32 v[11:12], v39 offset0:107 offset1:232
	v_mul_f32_e32 v19, v66, v14
	v_fmac_f32_e32 v19, v28, v13
	s_waitcnt vmcnt(4)
	v_mul_f32_e32 v66, v64, v16
	v_mul_f32_e32 v13, v20, v16
	v_fmac_f32_e32 v66, v20, v15
	v_fma_f32 v15, v64, v15, -v13
	s_waitcnt lgkmcnt(0)
	v_mul_f32_e32 v16, v11, v18
	v_mul_f32_e32 v13, v59, v18
	v_fmac_f32_e32 v16, v59, v17
	v_fma_f32 v17, v11, v17, -v13
	s_waitcnt vmcnt(3)
	v_mul_f32_e32 v20, v65, v24
	v_mul_f32_e32 v11, v27, v24
	v_fmac_f32_e32 v20, v27, v23
	v_fma_f32 v23, v65, v23, -v11
	v_mul_f32_e32 v24, v12, v26
	ds_read2_b32 v[13:14], v38 offset0:101 offset1:226
	v_mul_f32_e32 v11, v60, v26
	v_fmac_f32_e32 v24, v60, v25
	v_fma_f32 v25, v12, v25, -v11
	ds_read2_b32 v[11:12], v33 offset0:95 offset1:220
	s_waitcnt vmcnt(2)
	v_mul_f32_e32 v26, v55, v44
	s_waitcnt lgkmcnt(1)
	v_mul_f32_e32 v18, v13, v44
	v_fma_f32 v26, v13, v43, -v26
	v_mul_f32_e32 v13, v58, v46
	v_fmac_f32_e32 v18, v55, v43
	s_waitcnt lgkmcnt(0)
	v_mul_f32_e32 v27, v12, v46
	v_fma_f32 v43, v12, v45, -v13
	ds_read2_b32 v[12:13], v40 offset0:89 offset1:214
	s_waitcnt vmcnt(1)
	v_mul_f32_e32 v28, v56, v48
	v_mul_f32_e32 v44, v14, v48
	v_fma_f32 v14, v14, v47, -v28
	v_mul_f32_e32 v28, v61, v50
	v_fmac_f32_e32 v27, v58, v45
	v_fmac_f32_e32 v44, v56, v47
	s_waitcnt lgkmcnt(0)
	v_mul_f32_e32 v45, v12, v50
	v_fma_f32 v55, v12, v49, -v28
	s_waitcnt vmcnt(0)
	v_mul_f32_e32 v56, v11, v52
	v_mul_f32_e32 v12, v57, v52
	v_fmac_f32_e32 v56, v57, v51
	v_fma_f32 v57, v11, v51, -v12
	v_mul_f32_e32 v11, v62, v54
	v_mul_f32_e32 v58, v13, v54
	v_fma_f32 v13, v13, v53, -v11
	v_sub_f32_e32 v11, v9, v19
	v_sub_f32_e32 v12, v27, v18
	v_add_f32_e32 v28, v11, v12
	v_lshlrev_b32_sdwa v11, v8, v32 dst_sel:DWORD dst_unused:UNUSED_PAD src0_sel:DWORD src1_sel:BYTE_0
	v_mad_u32_u24 v12, v30, s0, 0
	v_add3_u32 v30, v12, v11, v42
	v_add_f32_e32 v11, v10, v9
	v_add_f32_e32 v11, v11, v19
	;; [unrolled: 1-line block ×5, first 2 shown]
	v_fma_f32 v46, -0.5, v11, v10
	v_sub_f32_e32 v47, v34, v43
	v_mov_b32_e32 v48, v46
	v_fmac_f32_e32 v45, v61, v49
	v_fmac_f32_e32 v48, 0xbf737871, v47
	v_sub_f32_e32 v49, v63, v26
	v_fmac_f32_e32 v48, 0xbf167918, v49
	v_fmac_f32_e32 v48, 0x3e9e377a, v28
	ds_read_b32 v54, v0
	ds_read2_b32 v[11:12], v31 offset0:125 offset1:250
	s_waitcnt lgkmcnt(0)
	s_barrier
	ds_write2_b32 v30, v32, v48 offset1:25
	v_add_f32_e32 v32, v9, v27
	v_fmac_f32_e32 v10, -0.5, v32
	v_sub_f32_e32 v32, v19, v9
	v_sub_f32_e32 v48, v18, v27
	v_add_f32_e32 v32, v32, v48
	v_mov_b32_e32 v48, v10
	v_fmac_f32_e32 v48, 0x3f737871, v49
	v_fmac_f32_e32 v10, 0xbf737871, v49
	;; [unrolled: 1-line block ×8, first 2 shown]
	ds_write2_b32 v30, v48, v10 offset0:50 offset1:75
	v_fmac_f32_e32 v46, 0x3e9e377a, v28
	v_sub_f32_e32 v10, v66, v16
	v_sub_f32_e32 v28, v45, v44
	v_lshlrev_b32_sdwa v8, v8, v67 dst_sel:DWORD dst_unused:UNUSED_PAD src0_sel:DWORD src1_sel:BYTE_0
	v_add_f32_e32 v10, v10, v28
	v_mad_u32_u24 v28, v36, s0, 0
	v_add3_u32 v32, v28, v8, v42
	v_add_f32_e32 v28, v16, v44
	v_fma_f32 v28, -0.5, v28, v6
	ds_write_b32 v30, v46 offset:400
	v_add_f32_e32 v8, v6, v66
	v_sub_f32_e32 v36, v15, v55
	v_mov_b32_e32 v46, v28
	v_add_f32_e32 v8, v8, v16
	v_fmac_f32_e32 v46, 0xbf737871, v36
	v_sub_f32_e32 v47, v17, v14
	v_add_f32_e32 v8, v8, v44
	v_fmac_f32_e32 v46, 0xbf167918, v47
	v_add_f32_e32 v8, v8, v45
	v_fmac_f32_e32 v46, 0x3e9e377a, v10
	ds_write2_b32 v32, v8, v46 offset1:25
	v_sub_f32_e32 v8, v16, v66
	v_sub_f32_e32 v46, v44, v45
	v_add_f32_e32 v8, v8, v46
	v_add_f32_e32 v46, v66, v45
	v_fma_f32 v6, -0.5, v46, v6
	v_mov_b32_e32 v46, v6
	v_fmac_f32_e32 v46, 0x3f737871, v47
	v_fmac_f32_e32 v6, 0xbf737871, v47
	;; [unrolled: 1-line block ×7, first 2 shown]
	ds_write2_b32 v32, v46, v6 offset0:50 offset1:75
	v_lshlrev_b32_e32 v6, 2, v69
	v_mad_u32_u24 v8, v68, s0, 0
	v_fmac_f32_e32 v28, 0x3f737871, v36
	v_add3_u32 v6, v8, v6, v42
	v_fmac_f32_e32 v28, 0x3f167918, v47
	v_add_f32_e32 v8, v24, v56
	v_add_f32_e32 v36, v20, v58
	v_fmac_f32_e32 v28, 0x3e9e377a, v10
	v_fma_f32 v8, -0.5, v8, v7
	v_add_f32_e32 v10, v7, v20
	v_fmac_f32_e32 v7, -0.5, v36
	v_sub_f32_e32 v36, v24, v20
	v_sub_f32_e32 v42, v56, v58
	v_add_f32_e32 v36, v36, v42
	v_sub_f32_e32 v42, v25, v57
	v_mov_b32_e32 v46, v7
	v_sub_f32_e32 v47, v23, v13
	v_fmac_f32_e32 v7, 0xbf737871, v42
	v_fmac_f32_e32 v46, 0x3f737871, v42
	;; [unrolled: 1-line block ×6, first 2 shown]
	ds_write_b32 v32, v28 offset:400
	ds_write2_b32 v6, v46, v7 offset0:50 offset1:75
	v_sub_f32_e32 v7, v20, v24
	v_sub_f32_e32 v28, v58, v56
	v_add_f32_e32 v7, v7, v28
	v_mov_b32_e32 v28, v8
	v_fmac_f32_e32 v28, 0xbf737871, v47
	v_fmac_f32_e32 v8, 0x3f737871, v47
	;; [unrolled: 1-line block ×6, first 2 shown]
	v_add_f32_e32 v7, v54, v34
	v_add_f32_e32 v7, v7, v63
	;; [unrolled: 1-line block ×8, first 2 shown]
	v_fma_f32 v60, -0.5, v7, v54
	ds_write2_b32 v6, v10, v28 offset1:25
	v_sub_f32_e32 v10, v9, v27
	v_mov_b32_e32 v61, v60
	v_sub_f32_e32 v36, v19, v18
	v_sub_f32_e32 v9, v34, v63
	;; [unrolled: 1-line block ×3, first 2 shown]
	v_fmac_f32_e32 v61, 0x3f737871, v10
	v_add_f32_e32 v59, v9, v18
	v_fmac_f32_e32 v61, 0x3f167918, v36
	v_fmac_f32_e32 v61, 0x3e9e377a, v59
	ds_write_b32 v6, v8 offset:400
	s_waitcnt lgkmcnt(0)
	s_barrier
	ds_read_b32 v9, v0
	ds_read2_b32 v[18:19], v35 offset0:119 offset1:244
	ds_read2_b32 v[27:28], v29 offset0:113 offset1:238
	;; [unrolled: 1-line block ×7, first 2 shown]
	s_waitcnt lgkmcnt(0)
	s_barrier
	ds_write2_b32 v30, v42, v61 offset1:25
	v_add_f32_e32 v42, v34, v43
	v_fmac_f32_e32 v54, -0.5, v42
	v_sub_f32_e32 v34, v63, v34
	v_sub_f32_e32 v26, v26, v43
	v_add_f32_e32 v26, v34, v26
	v_mov_b32_e32 v34, v54
	v_fmac_f32_e32 v34, 0xbf737871, v36
	v_fmac_f32_e32 v54, 0x3f737871, v36
	;; [unrolled: 1-line block ×9, first 2 shown]
	ds_write2_b32 v30, v34, v54 offset0:50 offset1:75
	ds_write_b32 v30, v60 offset:400
	v_sub_f32_e32 v26, v15, v17
	v_sub_f32_e32 v30, v55, v14
	v_add_f32_e32 v26, v26, v30
	v_add_f32_e32 v30, v11, v15
	;; [unrolled: 1-line block ×4, first 2 shown]
	v_sub_f32_e32 v17, v17, v15
	v_add_f32_e32 v15, v15, v55
	v_fma_f32 v34, -0.5, v34, v11
	v_fma_f32 v11, -0.5, v15, v11
	v_sub_f32_e32 v16, v16, v44
	v_mov_b32_e32 v15, v11
	v_sub_f32_e32 v10, v66, v45
	v_add_f32_e32 v30, v30, v14
	v_sub_f32_e32 v14, v14, v55
	v_fmac_f32_e32 v15, 0xbf737871, v16
	v_fmac_f32_e32 v11, 0x3f737871, v16
	v_add_f32_e32 v14, v17, v14
	v_fmac_f32_e32 v15, 0x3f167918, v10
	v_fmac_f32_e32 v11, 0xbf167918, v10
	;; [unrolled: 1-line block ×4, first 2 shown]
	ds_write2_b32 v32, v15, v11 offset0:50 offset1:75
	v_sub_f32_e32 v14, v23, v25
	v_sub_f32_e32 v15, v13, v57
	v_mov_b32_e32 v36, v34
	v_add_f32_e32 v14, v14, v15
	v_add_f32_e32 v15, v25, v57
	v_fmac_f32_e32 v36, 0x3f737871, v10
	v_fmac_f32_e32 v34, 0xbf737871, v10
	v_fma_f32 v15, -0.5, v15, v12
	v_fmac_f32_e32 v36, 0x3f167918, v16
	v_fmac_f32_e32 v34, 0xbf167918, v16
	v_sub_f32_e32 v10, v20, v58
	v_mov_b32_e32 v16, v15
	v_sub_f32_e32 v11, v24, v56
	v_fmac_f32_e32 v16, 0x3f737871, v10
	v_fmac_f32_e32 v15, 0xbf737871, v10
	;; [unrolled: 1-line block ×6, first 2 shown]
	v_add_f32_e32 v14, v12, v23
	v_add_f32_e32 v14, v14, v25
	;; [unrolled: 1-line block ×4, first 2 shown]
	v_fmac_f32_e32 v12, -0.5, v17
	v_sub_f32_e32 v17, v25, v23
	v_add_f32_e32 v14, v14, v13
	v_sub_f32_e32 v13, v57, v13
	v_add_f32_e32 v13, v17, v13
	v_mov_b32_e32 v17, v12
	v_fmac_f32_e32 v17, 0xbf737871, v11
	v_fmac_f32_e32 v12, 0x3f737871, v11
	v_add_f32_e32 v30, v30, v55
	v_fmac_f32_e32 v36, 0x3e9e377a, v26
	v_fmac_f32_e32 v34, 0x3e9e377a, v26
	;; [unrolled: 1-line block ×4, first 2 shown]
	ds_write2_b32 v32, v30, v36 offset1:25
	ds_write_b32 v32, v34 offset:400
	v_fmac_f32_e32 v17, 0x3e9e377a, v13
	v_fmac_f32_e32 v12, 0x3e9e377a, v13
	ds_write2_b32 v6, v14, v16 offset1:25
	ds_write2_b32 v6, v17, v12 offset0:50 offset1:75
	ds_write_b32 v6, v15 offset:400
	v_mov_b32_e32 v6, 0
	v_lshlrev_b64 v[10:11], 3, v[5:6]
	v_mov_b32_e32 v5, s13
	v_add_co_u32_e64 v54, s[0:1], s12, v10
	v_addc_co_u32_e64 v55, s[0:1], v5, v11, s[0:1]
	s_waitcnt lgkmcnt(0)
	s_barrier
	global_load_dwordx4 v[10:13], v[54:55], off offset:960
	s_movk_i32 s0, 0x625
	v_mul_u32_u24_sdwa v5, v22, s0 dst_sel:DWORD dst_unused:UNUSED_PAD src0_sel:WORD_0 src1_sel:DWORD
	v_sub_u16_sdwa v14, v22, v5 dst_sel:DWORD dst_unused:UNUSED_PAD src0_sel:DWORD src1_sel:WORD_1
	v_lshrrev_b16_e32 v14, 1, v14
	v_add_u16_sdwa v5, v14, v5 dst_sel:DWORD dst_unused:UNUSED_PAD src0_sel:DWORD src1_sel:WORD_1
	v_lshrrev_b16_e32 v5, 6, v5
	v_mul_lo_u16_e32 v5, 0x7d, v5
	v_sub_u16_e32 v5, v22, v5
	v_lshlrev_b32_e32 v20, 5, v5
	global_load_dwordx4 v[14:17], v20, s[12:13] offset:960
	global_load_dwordx4 v[23:26], v[54:55], off offset:976
	global_load_dwordx4 v[42:45], v20, s[12:13] offset:976
	ds_read2_b32 v[54:55], v35 offset0:119 offset1:244
	ds_read2_b32 v[56:57], v29 offset0:113 offset1:238
	v_add_u32_e32 v59, 0xe00, v31
	v_add_u32_e32 v58, 0xa00, v31
	v_lshl_add_u32 v5, v5, 2, v41
	v_add_u32_e32 v41, 0x1600, v5
	v_add_u32_e32 v60, 0x1200, v5
	s_movk_i32 s0, 0x1000
	s_waitcnt vmcnt(3) lgkmcnt(1)
	v_mul_f32_e32 v20, v54, v11
	v_fmac_f32_e32 v20, v18, v10
	v_mul_f32_e32 v30, v55, v11
	v_mul_f32_e32 v18, v18, v11
	v_mul_f32_e32 v11, v19, v11
	v_fmac_f32_e32 v30, v19, v10
	v_fma_f32 v32, v54, v10, -v18
	v_fma_f32 v34, v55, v10, -v11
	ds_read2_b32 v[10:11], v39 offset0:107 offset1:232
	s_waitcnt lgkmcnt(1)
	v_mul_f32_e32 v18, v57, v13
	v_mul_f32_e32 v19, v28, v13
	v_fmac_f32_e32 v18, v28, v12
	v_fma_f32 v28, v57, v12, -v19
	s_waitcnt lgkmcnt(0)
	v_mul_f32_e32 v36, v10, v13
	v_mul_f32_e32 v13, v50, v13
	v_fmac_f32_e32 v36, v50, v12
	v_fma_f32 v50, v10, v12, -v13
	ds_read2_b32 v[12:13], v38 offset0:101 offset1:226
	s_waitcnt vmcnt(2)
	v_mul_f32_e32 v54, v56, v15
	v_mul_f32_e32 v10, v27, v15
	v_fmac_f32_e32 v54, v27, v14
	v_fma_f32 v27, v56, v14, -v10
	v_mul_f32_e32 v55, v11, v17
	v_mul_f32_e32 v10, v51, v17
	v_fmac_f32_e32 v55, v51, v16
	v_fma_f32 v51, v11, v16, -v10
	s_waitcnt vmcnt(1) lgkmcnt(0)
	v_mul_f32_e32 v14, v12, v24
	v_mul_f32_e32 v56, v13, v24
	;; [unrolled: 1-line block ×3, first 2 shown]
	ds_read2_b32 v[10:11], v33 offset0:95 offset1:220
	v_mul_f32_e32 v16, v47, v24
	v_fmac_f32_e32 v14, v46, v23
	v_fmac_f32_e32 v56, v47, v23
	v_fma_f32 v46, v12, v23, -v15
	v_fma_f32 v47, v13, v23, -v16
	ds_read2_b32 v[12:13], v40 offset0:89 offset1:214
	s_waitcnt lgkmcnt(1)
	v_mul_f32_e32 v15, v11, v26
	v_mul_f32_e32 v16, v49, v26
	v_fmac_f32_e32 v15, v49, v25
	v_fma_f32 v49, v11, v25, -v16
	s_waitcnt lgkmcnt(0)
	v_mul_f32_e32 v57, v12, v26
	v_mul_f32_e32 v11, v52, v26
	v_fmac_f32_e32 v57, v52, v25
	v_fma_f32 v26, v12, v25, -v11
	s_waitcnt vmcnt(0)
	v_mul_f32_e32 v52, v10, v43
	v_mul_f32_e32 v11, v48, v43
	v_fmac_f32_e32 v52, v48, v42
	v_fma_f32 v42, v10, v42, -v11
	v_mul_f32_e32 v43, v13, v45
	v_mul_f32_e32 v10, v53, v45
	v_add_f32_e32 v12, v18, v14
	v_fmac_f32_e32 v43, v53, v44
	v_fma_f32 v44, v13, v44, -v10
	v_sub_f32_e32 v10, v20, v18
	v_sub_f32_e32 v11, v15, v14
	v_fma_f32 v12, -0.5, v12, v9
	v_add_f32_e32 v10, v10, v11
	v_add_f32_e32 v11, v9, v20
	v_sub_f32_e32 v13, v32, v49
	v_mov_b32_e32 v16, v12
	v_add_f32_e32 v11, v11, v18
	v_fmac_f32_e32 v16, 0xbf737871, v13
	v_sub_f32_e32 v17, v28, v46
	v_add_f32_e32 v11, v11, v14
	v_fmac_f32_e32 v16, 0xbf167918, v17
	v_add_f32_e32 v11, v11, v15
	v_fmac_f32_e32 v16, 0x3e9e377a, v10
	ds_read_b32 v45, v0
	ds_read2_b32 v[24:25], v31 offset0:125 offset1:250
	s_waitcnt lgkmcnt(0)
	s_barrier
	ds_write2_b32 v31, v11, v16 offset1:125
	v_add_f32_e32 v11, v20, v15
	v_fmac_f32_e32 v9, -0.5, v11
	v_sub_f32_e32 v11, v18, v20
	v_sub_f32_e32 v16, v14, v15
	v_add_f32_e32 v11, v11, v16
	v_mov_b32_e32 v16, v9
	v_fmac_f32_e32 v16, 0x3f737871, v17
	v_fmac_f32_e32 v9, 0xbf737871, v17
	;; [unrolled: 1-line block ×6, first 2 shown]
	v_add_u32_e32 v48, 0x200, v31
	ds_write2_b32 v48, v16, v9 offset0:122 offset1:247
	v_add_f32_e32 v9, v7, v30
	v_fmac_f32_e32 v12, 0x3f737871, v13
	v_add_f32_e32 v9, v9, v36
	v_fmac_f32_e32 v12, 0x3f167918, v17
	;; [unrolled: 2-line block ×3, first 2 shown]
	v_add_f32_e32 v9, v9, v57
	v_add_u32_e32 v53, 0x600, v31
	ds_write2_b32 v53, v12, v9 offset0:116 offset1:241
	v_sub_f32_e32 v9, v30, v36
	v_sub_f32_e32 v10, v57, v56
	v_add_f32_e32 v9, v9, v10
	v_sub_f32_e32 v10, v36, v30
	v_sub_f32_e32 v11, v56, v57
	v_add_f32_e32 v10, v10, v11
	v_add_f32_e32 v11, v36, v56
	;; [unrolled: 1-line block ×3, first 2 shown]
	v_fma_f32 v11, -0.5, v11, v7
	v_sub_f32_e32 v12, v34, v26
	v_sub_f32_e32 v16, v50, v47
	v_fma_f32 v7, -0.5, v17, v7
	v_mov_b32_e32 v13, v11
	v_mov_b32_e32 v17, v7
	v_fmac_f32_e32 v11, 0x3f737871, v12
	v_fmac_f32_e32 v7, 0xbf737871, v16
	;; [unrolled: 1-line block ×11, first 2 shown]
	ds_write2_b32 v59, v7, v11 offset0:104 offset1:229
	v_add_f32_e32 v7, v55, v52
	v_add_f32_e32 v10, v54, v43
	v_fmac_f32_e32 v13, 0x3e9e377a, v9
	v_fma_f32 v7, -0.5, v7, v8
	v_add_f32_e32 v9, v8, v54
	v_fmac_f32_e32 v8, -0.5, v10
	v_sub_f32_e32 v10, v55, v54
	v_sub_f32_e32 v11, v52, v43
	v_add_f32_e32 v10, v10, v11
	v_sub_f32_e32 v11, v51, v42
	v_mov_b32_e32 v12, v8
	ds_write2_b32 v58, v13, v17 offset0:110 offset1:235
	v_fmac_f32_e32 v12, 0x3f737871, v11
	v_sub_f32_e32 v13, v27, v44
	v_fmac_f32_e32 v8, 0xbf737871, v11
	v_fmac_f32_e32 v12, 0xbf167918, v13
	;; [unrolled: 1-line block ×5, first 2 shown]
	ds_write2_b32 v41, v12, v8 offset0:92 offset1:217
	v_sub_f32_e32 v8, v54, v55
	v_sub_f32_e32 v10, v43, v52
	v_add_f32_e32 v8, v8, v10
	v_mov_b32_e32 v10, v7
	v_add_f32_e32 v9, v9, v55
	v_fmac_f32_e32 v10, 0xbf737871, v13
	v_add_f32_e32 v9, v9, v52
	v_fmac_f32_e32 v10, 0xbf167918, v11
	;; [unrolled: 2-line block ×3, first 2 shown]
	ds_write2_b32 v60, v9, v10 offset0:98 offset1:223
	v_add_f32_e32 v9, v28, v46
	v_fma_f32 v63, -0.5, v9, v45
	v_add_f32_e32 v9, v32, v49
	v_add_f32_e32 v64, v45, v32
	v_fmac_f32_e32 v45, -0.5, v9
	v_sub_f32_e32 v62, v18, v14
	v_mov_b32_e32 v65, v45
	v_sub_f32_e32 v61, v20, v15
	v_sub_f32_e32 v9, v28, v32
	;; [unrolled: 1-line block ×3, first 2 shown]
	v_fmac_f32_e32 v65, 0xbf737871, v62
	v_fmac_f32_e32 v45, 0x3f737871, v62
	;; [unrolled: 1-line block ×3, first 2 shown]
	v_add_f32_e32 v9, v9, v10
	v_fmac_f32_e32 v65, 0x3f167918, v61
	v_fmac_f32_e32 v45, 0xbf167918, v61
	;; [unrolled: 1-line block ×6, first 2 shown]
	ds_write_b32 v5, v7 offset:7000
	s_waitcnt lgkmcnt(0)
	s_barrier
	ds_read_b32 v23, v0
	ds_read2_b32 v[9:10], v29 offset0:113 offset1:238
	ds_read2_b32 v[7:8], v38 offset0:101 offset1:226
	;; [unrolled: 1-line block ×7, first 2 shown]
	s_waitcnt lgkmcnt(0)
	s_barrier
	ds_write2_b32 v48, v65, v45 offset0:122 offset1:247
	v_sub_f32_e32 v32, v32, v28
	v_sub_f32_e32 v45, v49, v46
	v_add_f32_e32 v48, v24, v34
	v_add_f32_e32 v32, v32, v45
	v_mov_b32_e32 v45, v63
	v_fmac_f32_e32 v63, 0xbf737871, v61
	v_add_f32_e32 v48, v48, v50
	v_fmac_f32_e32 v63, 0xbf167918, v62
	v_add_f32_e32 v48, v48, v47
	;; [unrolled: 2-line block ×3, first 2 shown]
	ds_write2_b32 v53, v63, v48 offset0:116 offset1:241
	v_sub_f32_e32 v48, v34, v50
	v_sub_f32_e32 v53, v26, v47
	v_add_f32_e32 v48, v48, v53
	v_add_f32_e32 v53, v50, v47
	v_sub_f32_e32 v50, v50, v34
	v_add_f32_e32 v34, v34, v26
	v_sub_f32_e32 v30, v30, v57
	v_sub_f32_e32 v36, v36, v56
	;; [unrolled: 1-line block ×3, first 2 shown]
	v_fma_f32 v47, -0.5, v53, v24
	v_fma_f32 v24, -0.5, v34, v24
	v_add_f32_e32 v26, v50, v26
	v_mov_b32_e32 v50, v47
	v_mov_b32_e32 v34, v24
	v_fmac_f32_e32 v47, 0xbf737871, v30
	v_fmac_f32_e32 v24, 0x3f737871, v36
	;; [unrolled: 1-line block ×9, first 2 shown]
	ds_write2_b32 v59, v24, v47 offset0:104 offset1:229
	v_add_f32_e32 v24, v64, v28
	v_fmac_f32_e32 v45, 0x3f167918, v62
	v_fmac_f32_e32 v50, 0x3f167918, v36
	;; [unrolled: 1-line block ×3, first 2 shown]
	v_add_f32_e32 v24, v24, v46
	v_fmac_f32_e32 v45, 0x3e9e377a, v32
	v_add_f32_e32 v32, v51, v42
	v_fmac_f32_e32 v50, 0x3e9e377a, v48
	v_fmac_f32_e32 v34, 0x3e9e377a, v26
	v_add_f32_e32 v24, v24, v49
	v_fma_f32 v32, -0.5, v32, v25
	ds_write2_b32 v58, v50, v34 offset0:110 offset1:235
	ds_write2_b32 v31, v24, v45 offset1:125
	v_sub_f32_e32 v24, v54, v43
	v_mov_b32_e32 v34, v32
	v_sub_f32_e32 v26, v55, v52
	v_sub_f32_e32 v28, v27, v51
	;; [unrolled: 1-line block ×3, first 2 shown]
	v_fmac_f32_e32 v34, 0x3f737871, v24
	v_fmac_f32_e32 v32, 0xbf737871, v24
	v_add_f32_e32 v28, v28, v30
	v_fmac_f32_e32 v34, 0x3f167918, v26
	v_fmac_f32_e32 v32, 0xbf167918, v26
	;; [unrolled: 1-line block ×4, first 2 shown]
	v_add_f32_e32 v28, v27, v44
	v_add_f32_e32 v30, v25, v27
	v_fmac_f32_e32 v25, -0.5, v28
	v_sub_f32_e32 v27, v51, v27
	v_sub_f32_e32 v28, v42, v44
	v_add_f32_e32 v27, v27, v28
	v_mov_b32_e32 v28, v25
	v_add_f32_e32 v30, v30, v51
	v_fmac_f32_e32 v28, 0xbf737871, v26
	v_fmac_f32_e32 v25, 0x3f737871, v26
	v_add_f32_e32 v30, v30, v42
	v_fmac_f32_e32 v28, 0x3f167918, v24
	v_fmac_f32_e32 v25, 0xbf167918, v24
	;; [unrolled: 3-line block ×3, first 2 shown]
	ds_write2_b32 v60, v30, v34 offset0:98 offset1:223
	ds_write2_b32 v41, v28, v25 offset0:92 offset1:217
	ds_write_b32 v5, v32 offset:7000
	s_waitcnt lgkmcnt(0)
	s_barrier
	s_and_saveexec_b64 s[4:5], vcc
	s_cbranch_execz .LBB0_15
; %bb.14:
	v_lshlrev_b32_e32 v34, 1, v37
	v_add_u32_e32 v5, 0x3e8, v34
	v_lshlrev_b64 v[24:25], 3, v[5:6]
	v_mov_b32_e32 v28, s13
	v_add_co_u32_e32 v5, vcc, s12, v24
	v_addc_co_u32_e32 v25, vcc, v28, v25, vcc
	v_add_co_u32_e32 v24, vcc, s0, v5
	v_add_u32_e32 v5, 0x2ee, v34
	v_addc_co_u32_e32 v25, vcc, 0, v25, vcc
	v_lshlrev_b64 v[41:42], 3, v[5:6]
	global_load_dwordx4 v[24:27], v[24:25], off offset:864
	v_add_co_u32_e32 v5, vcc, s12, v41
	v_addc_co_u32_e32 v30, vcc, v28, v42, vcc
	v_add_co_u32_e32 v41, vcc, s0, v5
	v_addc_co_u32_e32 v42, vcc, 0, v30, vcc
	global_load_dwordx4 v[41:44], v[41:42], off offset:864
	v_lshlrev_b32_e32 v5, 1, v22
	v_mul_lo_u32 v32, s2, v4
	v_lshlrev_b64 v[4:5], 3, v[5:6]
	v_mul_lo_u32 v30, s3, v3
	v_add_co_u32_e32 v4, vcc, s12, v4
	v_addc_co_u32_e32 v5, vcc, v28, v5, vcc
	v_add_co_u32_e32 v4, vcc, s0, v4
	v_addc_co_u32_e32 v5, vcc, 0, v5, vcc
	global_load_dwordx4 v[45:48], v[4:5], off offset:864
	ds_read2_b32 v[57:58], v35 offset0:119 offset1:244
	ds_read2_b32 v[59:60], v38 offset0:101 offset1:226
	;; [unrolled: 1-line block ×4, first 2 shown]
	v_mov_b32_e32 v35, v6
	v_lshlrev_b64 v[34:35], 3, v[34:35]
	v_lshlrev_b32_e32 v5, 1, v21
	v_add_co_u32_e32 v34, vcc, s12, v34
	v_lshlrev_b64 v[21:22], 3, v[5:6]
	v_addc_co_u32_e32 v35, vcc, v28, v35, vcc
	v_add_co_u32_e32 v5, vcc, s12, v21
	v_addc_co_u32_e32 v22, vcc, v28, v22, vcc
	v_add_co_u32_e32 v21, vcc, s0, v5
	v_addc_co_u32_e32 v22, vcc, 0, v22, vcc
	global_load_dwordx4 v[49:52], v[21:22], off offset:864
	v_add_co_u32_e32 v21, vcc, s0, v34
	v_addc_co_u32_e32 v22, vcc, 0, v35, vcc
	global_load_dwordx4 v[53:56], v[21:22], off offset:864
	v_mad_u64_u32 v[3:4], s[2:3], s2, v3, 0
	s_mov_b32 s1, 0xd1b71759
	v_add3_u32 v4, v4, v32, v30
	v_lshlrev_b64 v[3:4], 3, v[3:4]
	v_add_co_u32_e32 v3, vcc, s10, v3
	s_waitcnt vmcnt(4)
	v_mul_f32_e32 v5, v7, v25
	v_mul_f32_e32 v21, v20, v27
	s_waitcnt lgkmcnt(2)
	v_mul_f32_e32 v22, v59, v25
	s_waitcnt lgkmcnt(1)
	v_mul_f32_e32 v27, v62, v27
	v_fma_f32 v5, v59, v24, -v5
	v_fma_f32 v25, v62, v26, -v21
	v_fmac_f32_e32 v22, v7, v24
	v_fmac_f32_e32 v27, v20, v26
	v_add_f32_e32 v20, v5, v25
	v_add_f32_e32 v26, v22, v27
	v_fma_f32 v21, -0.5, v20, v58
	v_fma_f32 v20, -0.5, v26, v18
	v_add_f32_e32 v24, v58, v5
	v_sub_f32_e32 v5, v5, v25
	v_mov_b32_e32 v26, v20
	s_waitcnt vmcnt(3)
	v_mul_f32_e32 v7, v16, v42
	v_sub_f32_e32 v28, v22, v27
	v_add_f32_e32 v22, v18, v22
	v_fmac_f32_e32 v20, 0xbf5db3d7, v5
	v_fmac_f32_e32 v26, 0x3f5db3d7, v5
	v_mul_f32_e32 v5, v19, v44
	s_waitcnt lgkmcnt(0)
	v_fma_f32 v7, v39, v41, -v7
	v_add_f32_e32 v25, v24, v25
	v_add_f32_e32 v24, v22, v27
	v_fma_f32 v5, v61, v43, -v5
	v_mul_f32_e32 v22, v39, v42
	v_add_f32_e32 v18, v7, v5
	v_fmac_f32_e32 v22, v16, v41
	v_mul_f32_e32 v16, v61, v44
	v_fma_f32 v35, -0.5, v18, v57
	v_fmac_f32_e32 v16, v19, v43
	v_sub_f32_e32 v18, v22, v16
	v_mov_b32_e32 v19, v35
	v_fmac_f32_e32 v19, 0xbf5db3d7, v18
	v_fmac_f32_e32 v35, 0x3f5db3d7, v18
	v_add_f32_e32 v18, v57, v7
	v_add_f32_e32 v40, v18, v5
	;; [unrolled: 1-line block ×3, first 2 shown]
	v_fma_f32 v34, -0.5, v18, v17
	v_sub_f32_e32 v5, v7, v5
	v_mov_b32_e32 v18, v34
	v_fmac_f32_e32 v18, 0x3f5db3d7, v5
	v_fmac_f32_e32 v34, 0xbf5db3d7, v5
	v_add_f32_e32 v5, v17, v22
	v_add_f32_e32 v39, v5, v16
	ds_read2_b32 v[16:17], v33 offset0:95 offset1:220
	ds_read2_b32 v[30:31], v31 offset0:125 offset1:250
	s_waitcnt vmcnt(2)
	v_mul_f32_e32 v5, v15, v46
	v_mul_f32_e32 v7, v14, v48
	v_fma_f32 v5, v38, v45, -v5
	s_waitcnt lgkmcnt(1)
	v_fma_f32 v7, v17, v47, -v7
	v_add_f32_e32 v22, v5, v7
	s_waitcnt lgkmcnt(0)
	v_fma_f32 v32, -0.5, v22, v31
	v_mul_f32_e32 v22, v38, v46
	v_mul_f32_e32 v17, v17, v48
	v_fmac_f32_e32 v22, v15, v45
	v_fmac_f32_e32 v17, v14, v47
	v_sub_f32_e32 v14, v22, v17
	v_mov_b32_e32 v15, v32
	v_mov_b32_e32 v27, v21
	v_fmac_f32_e32 v15, 0xbf5db3d7, v14
	v_fmac_f32_e32 v32, 0x3f5db3d7, v14
	v_add_f32_e32 v14, v31, v5
	v_fmac_f32_e32 v21, 0x3f5db3d7, v28
	v_fmac_f32_e32 v27, 0xbf5db3d7, v28
	v_add_f32_e32 v42, v14, v7
	v_add_f32_e32 v14, v22, v17
	ds_read2_b32 v[28:29], v29 offset0:113 offset1:238
	v_fma_f32 v31, -0.5, v14, v12
	v_sub_f32_e32 v5, v5, v7
	v_mov_b32_e32 v14, v31
	v_fmac_f32_e32 v14, 0x3f5db3d7, v5
	v_fmac_f32_e32 v31, 0xbf5db3d7, v5
	v_add_f32_e32 v5, v12, v22
	v_add_f32_e32 v41, v5, v17
	s_waitcnt vmcnt(1)
	v_mul_f32_e32 v5, v10, v50
	v_mul_f32_e32 v7, v13, v52
	s_waitcnt lgkmcnt(0)
	v_fma_f32 v5, v29, v49, -v5
	v_fma_f32 v7, v16, v51, -v7
	v_mul_f32_e32 v22, v29, v50
	v_add_f32_e32 v12, v5, v7
	v_fmac_f32_e32 v22, v10, v49
	v_mul_f32_e32 v10, v16, v52
	v_fma_f32 v17, -0.5, v12, v30
	v_fmac_f32_e32 v10, v13, v51
	v_sub_f32_e32 v12, v22, v10
	v_mov_b32_e32 v13, v17
	v_fmac_f32_e32 v13, 0xbf5db3d7, v12
	v_fmac_f32_e32 v17, 0x3f5db3d7, v12
	v_add_f32_e32 v12, v30, v5
	v_add_f32_e32 v30, v12, v7
	;; [unrolled: 1-line block ×3, first 2 shown]
	v_fma_f32 v16, -0.5, v12, v11
	v_sub_f32_e32 v5, v5, v7
	v_mov_b32_e32 v12, v16
	ds_read_b32 v0, v0
	v_fmac_f32_e32 v12, 0x3f5db3d7, v5
	v_fmac_f32_e32 v16, 0xbf5db3d7, v5
	v_add_f32_e32 v5, v11, v22
	v_add_f32_e32 v29, v5, v10
	s_waitcnt vmcnt(0)
	v_mul_f32_e32 v5, v9, v54
	v_mul_f32_e32 v7, v8, v56
	v_fma_f32 v5, v28, v53, -v5
	v_fma_f32 v7, v60, v55, -v7
	v_add_f32_e32 v10, v5, v7
	v_mul_f32_e32 v11, v28, v54
	v_mul_f32_e32 v22, v60, v56
	s_waitcnt lgkmcnt(0)
	v_fma_f32 v10, -0.5, v10, v0
	v_fmac_f32_e32 v11, v9, v53
	v_fmac_f32_e32 v22, v8, v55
	v_add_f32_e32 v0, v0, v5
	v_sub_f32_e32 v9, v11, v22
	v_mov_b32_e32 v8, v10
	v_add_f32_e32 v44, v0, v7
	v_add_f32_e32 v0, v11, v22
	v_fmac_f32_e32 v8, 0xbf5db3d7, v9
	v_fmac_f32_e32 v10, 0x3f5db3d7, v9
	v_fma_f32 v9, -0.5, v0, v23
	v_sub_f32_e32 v0, v5, v7
	v_mul_hi_u32 v5, v37, s1
	v_mov_b32_e32 v7, v9
	v_fmac_f32_e32 v7, 0x3f5db3d7, v0
	v_fmac_f32_e32 v9, 0xbf5db3d7, v0
	v_add_f32_e32 v0, v23, v11
	v_add_f32_e32 v43, v0, v22
	v_lshrrev_b32_e32 v0, 9, v5
	v_mul_u32_u24_e32 v0, 0x271, v0
	v_sub_u32_e32 v5, v37, v0
	v_mov_b32_e32 v0, s11
	v_addc_co_u32_e32 v4, vcc, v0, v4, vcc
	v_lshlrev_b64 v[0:1], 3, v[1:2]
	v_add_co_u32_e32 v11, vcc, v3, v0
	v_addc_co_u32_e32 v4, vcc, v4, v1, vcc
	v_lshlrev_b32_e32 v0, 3, v5
	v_add_co_u32_e32 v0, vcc, v11, v0
	v_addc_co_u32_e32 v1, vcc, 0, v4, vcc
	v_add_co_u32_e32 v2, vcc, s0, v0
	v_addc_co_u32_e32 v3, vcc, 0, v1, vcc
	global_store_dwordx2 v[2:3], v[9:10], off offset:904
	v_add_u32_e32 v2, 0x7d, v37
	v_mul_hi_u32 v3, v2, s1
	s_movk_i32 s0, 0x2000
	global_store_dwordx2 v[0:1], v[43:44], off
	v_add_co_u32_e32 v0, vcc, s0, v0
	v_addc_co_u32_e32 v1, vcc, 0, v1, vcc
	global_store_dwordx2 v[0:1], v[7:8], off offset:1808
	v_lshrrev_b32_e32 v0, 9, v3
	v_mul_u32_u24_e32 v1, 0x271, v0
	v_sub_u32_e32 v1, v2, v1
	s_movk_i32 s0, 0x753
	v_mad_u32_u24 v5, v0, s0, v1
	v_lshlrev_b64 v[0:1], 3, v[5:6]
	v_add_u32_e32 v2, 0xfa, v37
	v_add_co_u32_e32 v0, vcc, v11, v0
	v_addc_co_u32_e32 v1, vcc, v4, v1, vcc
	global_store_dwordx2 v[0:1], v[29:30], off
	v_add_u32_e32 v0, 0x271, v5
	v_mov_b32_e32 v1, v6
	v_lshlrev_b64 v[0:1], 3, v[0:1]
	v_add_u32_e32 v5, 0x4e2, v5
	v_add_co_u32_e32 v0, vcc, v11, v0
	v_addc_co_u32_e32 v1, vcc, v4, v1, vcc
	global_store_dwordx2 v[0:1], v[16:17], off
	v_lshlrev_b64 v[0:1], 3, v[5:6]
	v_mul_hi_u32 v3, v2, s1
	v_add_co_u32_e32 v0, vcc, v11, v0
	v_addc_co_u32_e32 v1, vcc, v4, v1, vcc
	global_store_dwordx2 v[0:1], v[12:13], off
	v_lshrrev_b32_e32 v0, 9, v3
	v_mul_u32_u24_e32 v1, 0x271, v0
	v_sub_u32_e32 v1, v2, v1
	v_mad_u32_u24 v5, v0, s0, v1
	v_lshlrev_b64 v[0:1], 3, v[5:6]
	v_add_u32_e32 v2, 0x177, v37
	v_add_co_u32_e32 v0, vcc, v11, v0
	v_addc_co_u32_e32 v1, vcc, v4, v1, vcc
	global_store_dwordx2 v[0:1], v[41:42], off
	v_add_u32_e32 v0, 0x271, v5
	v_mov_b32_e32 v1, v6
	v_lshlrev_b64 v[0:1], 3, v[0:1]
	v_add_u32_e32 v5, 0x4e2, v5
	v_add_co_u32_e32 v0, vcc, v11, v0
	v_addc_co_u32_e32 v1, vcc, v4, v1, vcc
	global_store_dwordx2 v[0:1], v[31:32], off
	v_lshlrev_b64 v[0:1], 3, v[5:6]
	v_mul_hi_u32 v3, v2, s1
	v_add_co_u32_e32 v0, vcc, v11, v0
	v_addc_co_u32_e32 v1, vcc, v4, v1, vcc
	global_store_dwordx2 v[0:1], v[14:15], off
	v_lshrrev_b32_e32 v0, 9, v3
	v_mul_u32_u24_e32 v1, 0x271, v0
	v_sub_u32_e32 v1, v2, v1
	;; [unrolled: 21-line block ×3, first 2 shown]
	v_mad_u32_u24 v5, v0, s0, v1
	v_lshlrev_b64 v[0:1], 3, v[5:6]
	v_add_co_u32_e32 v0, vcc, v11, v0
	v_addc_co_u32_e32 v1, vcc, v4, v1, vcc
	global_store_dwordx2 v[0:1], v[24:25], off
	v_add_u32_e32 v0, 0x271, v5
	v_mov_b32_e32 v1, v6
	v_lshlrev_b64 v[0:1], 3, v[0:1]
	v_add_u32_e32 v5, 0x4e2, v5
	v_add_co_u32_e32 v0, vcc, v11, v0
	v_addc_co_u32_e32 v1, vcc, v4, v1, vcc
	global_store_dwordx2 v[0:1], v[20:21], off
	v_lshlrev_b64 v[0:1], 3, v[5:6]
	v_add_co_u32_e32 v0, vcc, v11, v0
	v_addc_co_u32_e32 v1, vcc, v4, v1, vcc
	global_store_dwordx2 v[0:1], v[26:27], off
.LBB0_15:
	s_endpgm
	.section	.rodata,"a",@progbits
	.p2align	6, 0x0
	.amdhsa_kernel fft_rtc_back_len1875_factors_5_5_5_5_3_wgs_250_tpt_125_halfLds_sp_op_CI_CI_unitstride_sbrr_dirReg
		.amdhsa_group_segment_fixed_size 0
		.amdhsa_private_segment_fixed_size 0
		.amdhsa_kernarg_size 104
		.amdhsa_user_sgpr_count 6
		.amdhsa_user_sgpr_private_segment_buffer 1
		.amdhsa_user_sgpr_dispatch_ptr 0
		.amdhsa_user_sgpr_queue_ptr 0
		.amdhsa_user_sgpr_kernarg_segment_ptr 1
		.amdhsa_user_sgpr_dispatch_id 0
		.amdhsa_user_sgpr_flat_scratch_init 0
		.amdhsa_user_sgpr_private_segment_size 0
		.amdhsa_uses_dynamic_stack 0
		.amdhsa_system_sgpr_private_segment_wavefront_offset 0
		.amdhsa_system_sgpr_workgroup_id_x 1
		.amdhsa_system_sgpr_workgroup_id_y 0
		.amdhsa_system_sgpr_workgroup_id_z 0
		.amdhsa_system_sgpr_workgroup_info 0
		.amdhsa_system_vgpr_workitem_id 0
		.amdhsa_next_free_vgpr 72
		.amdhsa_next_free_sgpr 28
		.amdhsa_reserve_vcc 1
		.amdhsa_reserve_flat_scratch 0
		.amdhsa_float_round_mode_32 0
		.amdhsa_float_round_mode_16_64 0
		.amdhsa_float_denorm_mode_32 3
		.amdhsa_float_denorm_mode_16_64 3
		.amdhsa_dx10_clamp 1
		.amdhsa_ieee_mode 1
		.amdhsa_fp16_overflow 0
		.amdhsa_exception_fp_ieee_invalid_op 0
		.amdhsa_exception_fp_denorm_src 0
		.amdhsa_exception_fp_ieee_div_zero 0
		.amdhsa_exception_fp_ieee_overflow 0
		.amdhsa_exception_fp_ieee_underflow 0
		.amdhsa_exception_fp_ieee_inexact 0
		.amdhsa_exception_int_div_zero 0
	.end_amdhsa_kernel
	.text
.Lfunc_end0:
	.size	fft_rtc_back_len1875_factors_5_5_5_5_3_wgs_250_tpt_125_halfLds_sp_op_CI_CI_unitstride_sbrr_dirReg, .Lfunc_end0-fft_rtc_back_len1875_factors_5_5_5_5_3_wgs_250_tpt_125_halfLds_sp_op_CI_CI_unitstride_sbrr_dirReg
                                        ; -- End function
	.section	.AMDGPU.csdata,"",@progbits
; Kernel info:
; codeLenInByte = 10076
; NumSgprs: 32
; NumVgprs: 72
; ScratchSize: 0
; MemoryBound: 0
; FloatMode: 240
; IeeeMode: 1
; LDSByteSize: 0 bytes/workgroup (compile time only)
; SGPRBlocks: 3
; VGPRBlocks: 17
; NumSGPRsForWavesPerEU: 32
; NumVGPRsForWavesPerEU: 72
; Occupancy: 3
; WaveLimiterHint : 1
; COMPUTE_PGM_RSRC2:SCRATCH_EN: 0
; COMPUTE_PGM_RSRC2:USER_SGPR: 6
; COMPUTE_PGM_RSRC2:TRAP_HANDLER: 0
; COMPUTE_PGM_RSRC2:TGID_X_EN: 1
; COMPUTE_PGM_RSRC2:TGID_Y_EN: 0
; COMPUTE_PGM_RSRC2:TGID_Z_EN: 0
; COMPUTE_PGM_RSRC2:TIDIG_COMP_CNT: 0
	.type	__hip_cuid_788fd42c2e46202d,@object ; @__hip_cuid_788fd42c2e46202d
	.section	.bss,"aw",@nobits
	.globl	__hip_cuid_788fd42c2e46202d
__hip_cuid_788fd42c2e46202d:
	.byte	0                               ; 0x0
	.size	__hip_cuid_788fd42c2e46202d, 1

	.ident	"AMD clang version 19.0.0git (https://github.com/RadeonOpenCompute/llvm-project roc-6.4.0 25133 c7fe45cf4b819c5991fe208aaa96edf142730f1d)"
	.section	".note.GNU-stack","",@progbits
	.addrsig
	.addrsig_sym __hip_cuid_788fd42c2e46202d
	.amdgpu_metadata
---
amdhsa.kernels:
  - .args:
      - .actual_access:  read_only
        .address_space:  global
        .offset:         0
        .size:           8
        .value_kind:     global_buffer
      - .offset:         8
        .size:           8
        .value_kind:     by_value
      - .actual_access:  read_only
        .address_space:  global
        .offset:         16
        .size:           8
        .value_kind:     global_buffer
      - .actual_access:  read_only
        .address_space:  global
        .offset:         24
        .size:           8
        .value_kind:     global_buffer
      - .actual_access:  read_only
        .address_space:  global
        .offset:         32
        .size:           8
        .value_kind:     global_buffer
      - .offset:         40
        .size:           8
        .value_kind:     by_value
      - .actual_access:  read_only
        .address_space:  global
        .offset:         48
        .size:           8
        .value_kind:     global_buffer
      - .actual_access:  read_only
        .address_space:  global
        .offset:         56
        .size:           8
        .value_kind:     global_buffer
      - .offset:         64
        .size:           4
        .value_kind:     by_value
      - .actual_access:  read_only
        .address_space:  global
        .offset:         72
        .size:           8
        .value_kind:     global_buffer
      - .actual_access:  read_only
        .address_space:  global
        .offset:         80
        .size:           8
        .value_kind:     global_buffer
      - .actual_access:  read_only
        .address_space:  global
        .offset:         88
        .size:           8
        .value_kind:     global_buffer
      - .actual_access:  write_only
        .address_space:  global
        .offset:         96
        .size:           8
        .value_kind:     global_buffer
    .group_segment_fixed_size: 0
    .kernarg_segment_align: 8
    .kernarg_segment_size: 104
    .language:       OpenCL C
    .language_version:
      - 2
      - 0
    .max_flat_workgroup_size: 250
    .name:           fft_rtc_back_len1875_factors_5_5_5_5_3_wgs_250_tpt_125_halfLds_sp_op_CI_CI_unitstride_sbrr_dirReg
    .private_segment_fixed_size: 0
    .sgpr_count:     32
    .sgpr_spill_count: 0
    .symbol:         fft_rtc_back_len1875_factors_5_5_5_5_3_wgs_250_tpt_125_halfLds_sp_op_CI_CI_unitstride_sbrr_dirReg.kd
    .uniform_work_group_size: 1
    .uses_dynamic_stack: false
    .vgpr_count:     72
    .vgpr_spill_count: 0
    .wavefront_size: 64
amdhsa.target:   amdgcn-amd-amdhsa--gfx906
amdhsa.version:
  - 1
  - 2
...

	.end_amdgpu_metadata
